;; amdgpu-corpus repo=ROCm/rocFFT kind=compiled arch=gfx906 opt=O3
	.text
	.amdgcn_target "amdgcn-amd-amdhsa--gfx906"
	.amdhsa_code_object_version 6
	.protected	fft_rtc_fwd_len630_factors_3_3_5_7_2_wgs_63_tpt_63_halfLds_sp_op_CI_CI_sbrr_dirReg ; -- Begin function fft_rtc_fwd_len630_factors_3_3_5_7_2_wgs_63_tpt_63_halfLds_sp_op_CI_CI_sbrr_dirReg
	.globl	fft_rtc_fwd_len630_factors_3_3_5_7_2_wgs_63_tpt_63_halfLds_sp_op_CI_CI_sbrr_dirReg
	.p2align	8
	.type	fft_rtc_fwd_len630_factors_3_3_5_7_2_wgs_63_tpt_63_halfLds_sp_op_CI_CI_sbrr_dirReg,@function
fft_rtc_fwd_len630_factors_3_3_5_7_2_wgs_63_tpt_63_halfLds_sp_op_CI_CI_sbrr_dirReg: ; @fft_rtc_fwd_len630_factors_3_3_5_7_2_wgs_63_tpt_63_halfLds_sp_op_CI_CI_sbrr_dirReg
; %bb.0:
	s_load_dwordx4 s[16:19], s[4:5], 0x18
	s_load_dwordx4 s[12:15], s[4:5], 0x0
	;; [unrolled: 1-line block ×3, first 2 shown]
	v_mul_u32_u24_e32 v1, 0x411, v0
	v_mov_b32_e32 v3, 0
	s_waitcnt lgkmcnt(0)
	s_load_dwordx2 s[2:3], s[16:17], 0x0
	s_load_dwordx2 s[20:21], s[18:19], 0x0
	v_cmp_lt_u64_e64 s[0:1], s[14:15], 2
	v_mov_b32_e32 v11, 0
	v_add_u32_sdwa v7, s6, v1 dst_sel:DWORD dst_unused:UNUSED_PAD src0_sel:DWORD src1_sel:WORD_1
	v_mov_b32_e32 v8, v3
	s_and_b64 vcc, exec, s[0:1]
	v_mov_b32_e32 v12, 0
	s_cbranch_vccnz .LBB0_8
; %bb.1:
	s_load_dwordx2 s[0:1], s[4:5], 0x10
	s_add_u32 s6, s18, 8
	s_addc_u32 s7, s19, 0
	s_add_u32 s22, s16, 8
	s_addc_u32 s23, s17, 0
	v_mov_b32_e32 v11, 0
	s_waitcnt lgkmcnt(0)
	s_add_u32 s24, s0, 8
	v_mov_b32_e32 v12, 0
	v_mov_b32_e32 v1, v11
	s_addc_u32 s25, s1, 0
	s_mov_b64 s[26:27], 1
	v_mov_b32_e32 v2, v12
.LBB0_2:                                ; =>This Inner Loop Header: Depth=1
	s_load_dwordx2 s[28:29], s[24:25], 0x0
                                        ; implicit-def: $vgpr5_vgpr6
	s_waitcnt lgkmcnt(0)
	v_or_b32_e32 v4, s29, v8
	v_cmp_ne_u64_e32 vcc, 0, v[3:4]
	s_and_saveexec_b64 s[0:1], vcc
	s_xor_b64 s[30:31], exec, s[0:1]
	s_cbranch_execz .LBB0_4
; %bb.3:                                ;   in Loop: Header=BB0_2 Depth=1
	v_cvt_f32_u32_e32 v4, s28
	v_cvt_f32_u32_e32 v5, s29
	s_sub_u32 s0, 0, s28
	s_subb_u32 s1, 0, s29
	v_mac_f32_e32 v4, 0x4f800000, v5
	v_rcp_f32_e32 v4, v4
	v_mul_f32_e32 v4, 0x5f7ffffc, v4
	v_mul_f32_e32 v5, 0x2f800000, v4
	v_trunc_f32_e32 v5, v5
	v_mac_f32_e32 v4, 0xcf800000, v5
	v_cvt_u32_f32_e32 v5, v5
	v_cvt_u32_f32_e32 v4, v4
	v_mul_lo_u32 v6, s0, v5
	v_mul_hi_u32 v9, s0, v4
	v_mul_lo_u32 v13, s1, v4
	v_mul_lo_u32 v10, s0, v4
	v_add_u32_e32 v6, v9, v6
	v_add_u32_e32 v6, v6, v13
	v_mul_hi_u32 v9, v4, v10
	v_mul_lo_u32 v13, v4, v6
	v_mul_hi_u32 v15, v4, v6
	v_mul_hi_u32 v14, v5, v10
	v_mul_lo_u32 v10, v5, v10
	v_mul_hi_u32 v16, v5, v6
	v_add_co_u32_e32 v9, vcc, v9, v13
	v_addc_co_u32_e32 v13, vcc, 0, v15, vcc
	v_mul_lo_u32 v6, v5, v6
	v_add_co_u32_e32 v9, vcc, v9, v10
	v_addc_co_u32_e32 v9, vcc, v13, v14, vcc
	v_addc_co_u32_e32 v10, vcc, 0, v16, vcc
	v_add_co_u32_e32 v6, vcc, v9, v6
	v_addc_co_u32_e32 v9, vcc, 0, v10, vcc
	v_add_co_u32_e32 v4, vcc, v4, v6
	v_addc_co_u32_e32 v5, vcc, v5, v9, vcc
	v_mul_lo_u32 v6, s0, v5
	v_mul_hi_u32 v9, s0, v4
	v_mul_lo_u32 v10, s1, v4
	v_mul_lo_u32 v13, s0, v4
	v_add_u32_e32 v6, v9, v6
	v_add_u32_e32 v6, v6, v10
	v_mul_lo_u32 v14, v4, v6
	v_mul_hi_u32 v15, v4, v13
	v_mul_hi_u32 v16, v4, v6
	;; [unrolled: 1-line block ×3, first 2 shown]
	v_mul_lo_u32 v13, v5, v13
	v_mul_hi_u32 v9, v5, v6
	v_add_co_u32_e32 v14, vcc, v15, v14
	v_addc_co_u32_e32 v15, vcc, 0, v16, vcc
	v_mul_lo_u32 v6, v5, v6
	v_add_co_u32_e32 v13, vcc, v14, v13
	v_addc_co_u32_e32 v10, vcc, v15, v10, vcc
	v_addc_co_u32_e32 v9, vcc, 0, v9, vcc
	v_add_co_u32_e32 v6, vcc, v10, v6
	v_addc_co_u32_e32 v9, vcc, 0, v9, vcc
	v_add_co_u32_e32 v6, vcc, v4, v6
	v_addc_co_u32_e32 v9, vcc, v5, v9, vcc
	v_mad_u64_u32 v[4:5], s[0:1], v7, v9, 0
	v_mul_hi_u32 v10, v7, v6
	v_add_co_u32_e32 v13, vcc, v10, v4
	v_addc_co_u32_e32 v14, vcc, 0, v5, vcc
	v_mad_u64_u32 v[4:5], s[0:1], v8, v6, 0
	v_mad_u64_u32 v[9:10], s[0:1], v8, v9, 0
	v_add_co_u32_e32 v4, vcc, v13, v4
	v_addc_co_u32_e32 v4, vcc, v14, v5, vcc
	v_addc_co_u32_e32 v5, vcc, 0, v10, vcc
	v_add_co_u32_e32 v9, vcc, v4, v9
	v_addc_co_u32_e32 v6, vcc, 0, v5, vcc
	v_mul_lo_u32 v10, s29, v9
	v_mul_lo_u32 v13, s28, v6
	v_mad_u64_u32 v[4:5], s[0:1], s28, v9, 0
	v_add3_u32 v5, v5, v13, v10
	v_sub_u32_e32 v10, v8, v5
	v_mov_b32_e32 v13, s29
	v_sub_co_u32_e32 v4, vcc, v7, v4
	v_subb_co_u32_e64 v10, s[0:1], v10, v13, vcc
	v_subrev_co_u32_e64 v13, s[0:1], s28, v4
	v_subbrev_co_u32_e64 v10, s[0:1], 0, v10, s[0:1]
	v_cmp_le_u32_e64 s[0:1], s29, v10
	v_cndmask_b32_e64 v14, 0, -1, s[0:1]
	v_cmp_le_u32_e64 s[0:1], s28, v13
	v_cndmask_b32_e64 v13, 0, -1, s[0:1]
	v_cmp_eq_u32_e64 s[0:1], s29, v10
	v_cndmask_b32_e64 v10, v14, v13, s[0:1]
	v_add_co_u32_e64 v13, s[0:1], 2, v9
	v_addc_co_u32_e64 v14, s[0:1], 0, v6, s[0:1]
	v_add_co_u32_e64 v15, s[0:1], 1, v9
	v_addc_co_u32_e64 v16, s[0:1], 0, v6, s[0:1]
	v_subb_co_u32_e32 v5, vcc, v8, v5, vcc
	v_cmp_ne_u32_e64 s[0:1], 0, v10
	v_cmp_le_u32_e32 vcc, s29, v5
	v_cndmask_b32_e64 v10, v16, v14, s[0:1]
	v_cndmask_b32_e64 v14, 0, -1, vcc
	v_cmp_le_u32_e32 vcc, s28, v4
	v_cndmask_b32_e64 v4, 0, -1, vcc
	v_cmp_eq_u32_e32 vcc, s29, v5
	v_cndmask_b32_e32 v4, v14, v4, vcc
	v_cmp_ne_u32_e32 vcc, 0, v4
	v_cndmask_b32_e64 v4, v15, v13, s[0:1]
	v_cndmask_b32_e32 v6, v6, v10, vcc
	v_cndmask_b32_e32 v5, v9, v4, vcc
.LBB0_4:                                ;   in Loop: Header=BB0_2 Depth=1
	s_andn2_saveexec_b64 s[0:1], s[30:31]
	s_cbranch_execz .LBB0_6
; %bb.5:                                ;   in Loop: Header=BB0_2 Depth=1
	v_cvt_f32_u32_e32 v4, s28
	s_sub_i32 s30, 0, s28
	v_rcp_iflag_f32_e32 v4, v4
	v_mul_f32_e32 v4, 0x4f7ffffe, v4
	v_cvt_u32_f32_e32 v4, v4
	v_mul_lo_u32 v5, s30, v4
	v_mul_hi_u32 v5, v4, v5
	v_add_u32_e32 v4, v4, v5
	v_mul_hi_u32 v4, v7, v4
	v_mul_lo_u32 v5, v4, s28
	v_add_u32_e32 v6, 1, v4
	v_sub_u32_e32 v5, v7, v5
	v_subrev_u32_e32 v9, s28, v5
	v_cmp_le_u32_e32 vcc, s28, v5
	v_cndmask_b32_e32 v5, v5, v9, vcc
	v_cndmask_b32_e32 v4, v4, v6, vcc
	v_add_u32_e32 v6, 1, v4
	v_cmp_le_u32_e32 vcc, s28, v5
	v_cndmask_b32_e32 v5, v4, v6, vcc
	v_mov_b32_e32 v6, v3
.LBB0_6:                                ;   in Loop: Header=BB0_2 Depth=1
	s_or_b64 exec, exec, s[0:1]
	v_mul_lo_u32 v4, v6, s28
	v_mul_lo_u32 v13, v5, s29
	v_mad_u64_u32 v[9:10], s[0:1], v5, s28, 0
	s_load_dwordx2 s[0:1], s[22:23], 0x0
	s_load_dwordx2 s[28:29], s[6:7], 0x0
	v_add3_u32 v4, v10, v13, v4
	v_sub_co_u32_e32 v7, vcc, v7, v9
	v_subb_co_u32_e32 v4, vcc, v8, v4, vcc
	s_waitcnt lgkmcnt(0)
	v_mul_lo_u32 v8, s0, v4
	v_mul_lo_u32 v9, s1, v7
	v_mad_u64_u32 v[11:12], s[0:1], s0, v7, v[11:12]
	s_add_u32 s26, s26, 1
	s_addc_u32 s27, s27, 0
	s_add_u32 s6, s6, 8
	v_mul_lo_u32 v4, s28, v4
	v_mul_lo_u32 v10, s29, v7
	v_mad_u64_u32 v[1:2], s[0:1], s28, v7, v[1:2]
	v_add3_u32 v12, v9, v12, v8
	s_addc_u32 s7, s7, 0
	v_mov_b32_e32 v7, s14
	s_add_u32 s22, s22, 8
	v_mov_b32_e32 v8, s15
	s_addc_u32 s23, s23, 0
	v_cmp_ge_u64_e32 vcc, s[26:27], v[7:8]
	s_add_u32 s24, s24, 8
	v_add3_u32 v2, v10, v2, v4
	s_addc_u32 s25, s25, 0
	s_cbranch_vccnz .LBB0_9
; %bb.7:                                ;   in Loop: Header=BB0_2 Depth=1
	v_mov_b32_e32 v8, v6
	v_mov_b32_e32 v7, v5
	s_branch .LBB0_2
.LBB0_8:
	v_mov_b32_e32 v1, v11
	v_mov_b32_e32 v5, v7
	;; [unrolled: 1-line block ×4, first 2 shown]
.LBB0_9:
	s_load_dwordx2 s[0:1], s[4:5], 0x28
	s_lshl_b64 s[14:15], s[14:15], 3
	s_add_u32 s4, s18, s14
	s_addc_u32 s5, s19, s15
                                        ; implicit-def: $vgpr3
                                        ; implicit-def: $vgpr7
                                        ; implicit-def: $vgpr8
	s_waitcnt lgkmcnt(0)
	v_cmp_gt_u64_e32 vcc, s[0:1], v[5:6]
	v_cmp_le_u64_e64 s[0:1], s[0:1], v[5:6]
	s_and_saveexec_b64 s[6:7], s[0:1]
	s_xor_b64 s[0:1], exec, s[6:7]
; %bb.10:
	s_mov_b32 s6, 0x4104105
	v_mul_hi_u32 v3, v0, s6
                                        ; implicit-def: $vgpr11_vgpr12
	v_mul_u32_u24_e32 v3, 63, v3
	v_sub_u32_e32 v3, v0, v3
	v_add_u32_e32 v7, 63, v3
	v_add_u32_e32 v8, 0x7e, v3
                                        ; implicit-def: $vgpr0
; %bb.11:
	s_or_saveexec_b64 s[6:7], s[0:1]
	s_load_dwordx2 s[4:5], s[4:5], 0x0
                                        ; implicit-def: $vgpr13
                                        ; implicit-def: $vgpr30
                                        ; implicit-def: $vgpr32
                                        ; implicit-def: $vgpr28
                                        ; implicit-def: $vgpr18
                                        ; implicit-def: $vgpr15
                                        ; implicit-def: $vgpr26
                                        ; implicit-def: $vgpr10
                                        ; implicit-def: $vgpr38
                                        ; implicit-def: $vgpr36
                                        ; implicit-def: $vgpr34
                                        ; implicit-def: $vgpr24
	s_xor_b64 exec, exec, s[6:7]
	s_cbranch_execz .LBB0_15
; %bb.12:
	s_add_u32 s0, s16, s14
	s_mov_b32 s14, 0x4104105
	v_mul_hi_u32 v3, v0, s14
	s_addc_u32 s1, s17, s15
	s_load_dwordx2 s[0:1], s[0:1], 0x0
	v_mul_u32_u24_e32 v3, 63, v3
	v_sub_u32_e32 v3, v0, v3
	v_mad_u64_u32 v[7:8], s[14:15], s2, v3, 0
	s_waitcnt lgkmcnt(0)
	v_mul_lo_u32 v4, s1, v5
	v_mul_lo_u32 v15, s0, v6
	v_mad_u64_u32 v[9:10], s[0:1], s0, v5, 0
	v_mov_b32_e32 v0, v8
	v_mad_u64_u32 v[13:14], s[0:1], s3, v3, v[0:1]
	v_add3_u32 v10, v10, v15, v4
	v_lshlrev_b64 v[9:10], 3, v[9:10]
	v_mov_b32_e32 v0, s9
	v_add_co_u32_e64 v4, s[0:1], s8, v9
	v_add_u32_e32 v14, 0xd2, v3
	v_mov_b32_e32 v8, v13
	v_addc_co_u32_e64 v13, s[0:1], v0, v10, s[0:1]
	v_lshlrev_b64 v[9:10], 3, v[11:12]
	v_mad_u64_u32 v[11:12], s[0:1], s2, v14, 0
	v_add_co_u32_e64 v0, s[0:1], v4, v9
	v_mov_b32_e32 v9, v12
	v_addc_co_u32_e64 v4, s[0:1], v13, v10, s[0:1]
	v_mad_u64_u32 v[9:10], s[0:1], s3, v14, v[9:10]
	v_add_u32_e32 v10, 0x1a4, v3
	v_lshlrev_b64 v[7:8], 3, v[7:8]
	v_mad_u64_u32 v[13:14], s[0:1], s2, v10, 0
	v_add_co_u32_e64 v19, s[0:1], v0, v7
	v_mov_b32_e32 v12, v9
	v_addc_co_u32_e64 v20, s[0:1], v4, v8, s[0:1]
	v_lshlrev_b64 v[8:9], 3, v[11:12]
	v_mov_b32_e32 v7, v14
	v_mad_u64_u32 v[10:11], s[0:1], s3, v10, v[7:8]
	v_add_u32_e32 v7, 63, v3
	v_mad_u64_u32 v[11:12], s[0:1], s2, v7, 0
	v_add_co_u32_e64 v21, s[0:1], v0, v8
	v_mov_b32_e32 v14, v10
	v_mov_b32_e32 v10, v12
	v_addc_co_u32_e64 v22, s[0:1], v4, v9, s[0:1]
	v_lshlrev_b64 v[8:9], 3, v[13:14]
	v_mad_u64_u32 v[12:13], s[0:1], s3, v7, v[10:11]
	v_add_u32_e32 v15, 0x111, v3
	v_mad_u64_u32 v[13:14], s[0:1], s2, v15, 0
	v_add_co_u32_e64 v35, s[0:1], v0, v8
	v_mov_b32_e32 v10, v14
	v_addc_co_u32_e64 v36, s[0:1], v4, v9, s[0:1]
	v_lshlrev_b64 v[8:9], 3, v[11:12]
	v_mad_u64_u32 v[10:11], s[0:1], s3, v15, v[10:11]
	v_add_u32_e32 v15, 0x1e3, v3
	v_mad_u64_u32 v[11:12], s[0:1], s2, v15, 0
	v_add_co_u32_e64 v37, s[0:1], v0, v8
	v_mov_b32_e32 v14, v10
	v_addc_co_u32_e64 v38, s[0:1], v4, v9, s[0:1]
	v_lshlrev_b64 v[9:10], 3, v[13:14]
	v_mov_b32_e32 v8, v12
	v_mad_u64_u32 v[12:13], s[0:1], s3, v15, v[8:9]
	v_add_u32_e32 v8, 0x7e, v3
	v_mad_u64_u32 v[13:14], s[0:1], s2, v8, 0
	v_add_co_u32_e64 v9, s[0:1], v0, v9
	v_addc_co_u32_e64 v10, s[0:1], v4, v10, s[0:1]
	v_mad_u64_u32 v[14:15], s[0:1], s3, v8, v[14:15]
	v_add_u32_e32 v17, 0x150, v3
	v_mad_u64_u32 v[15:16], s[0:1], s2, v17, 0
	v_lshlrev_b64 v[11:12], 3, v[11:12]
	v_add_co_u32_e64 v39, s[0:1], v0, v11
	v_addc_co_u32_e64 v40, s[0:1], v4, v12, s[0:1]
	v_lshlrev_b64 v[11:12], 3, v[13:14]
	v_mov_b32_e32 v13, v16
	v_mad_u64_u32 v[13:14], s[0:1], s3, v17, v[13:14]
	v_add_u32_e32 v14, 0x222, v3
	v_mad_u64_u32 v[17:18], s[0:1], s2, v14, 0
	v_add_co_u32_e64 v41, s[0:1], v0, v11
	v_mov_b32_e32 v16, v13
	v_mov_b32_e32 v13, v18
	v_addc_co_u32_e64 v42, s[0:1], v4, v12, s[0:1]
	v_mad_u64_u32 v[13:14], s[0:1], s3, v14, v[13:14]
	v_lshlrev_b64 v[11:12], 3, v[15:16]
	v_add_co_u32_e64 v43, s[0:1], v0, v11
	v_mov_b32_e32 v18, v13
	v_addc_co_u32_e64 v44, s[0:1], v4, v12, s[0:1]
	v_lshlrev_b64 v[11:12], 3, v[17:18]
	v_add_co_u32_e64 v45, s[0:1], v0, v11
	v_addc_co_u32_e64 v46, s[0:1], v4, v12, s[0:1]
	global_load_dwordx2 v[12:13], v[19:20], off
	global_load_dwordx2 v[29:30], v[21:22], off
	;; [unrolled: 1-line block ×9, first 2 shown]
	v_cmp_gt_u32_e64 s[0:1], 21, v3
                                        ; implicit-def: $vgpr35
                                        ; implicit-def: $vgpr37
                                        ; implicit-def: $vgpr9
	s_and_saveexec_b64 s[8:9], s[0:1]
	s_cbranch_execz .LBB0_14
; %bb.13:
	v_add_u32_e32 v11, 0xbd, v3
	v_mad_u64_u32 v[9:10], s[0:1], s2, v11, 0
	v_add_u32_e32 v16, 0x18f, v3
	v_mad_u64_u32 v[19:20], s[0:1], s2, v16, 0
	v_mad_u64_u32 v[10:11], s[0:1], s3, v11, v[10:11]
	v_mov_b32_e32 v11, v20
	s_waitcnt vmcnt(8)
	v_mad_u64_u32 v[20:21], s[0:1], s3, v16, v[11:12]
	v_add_u32_e32 v16, 0x261, v3
	v_mad_u64_u32 v[21:22], s[0:1], s2, v16, 0
	v_lshlrev_b64 v[9:10], 3, v[9:10]
	v_add_co_u32_e64 v39, s[0:1], v0, v9
	v_mov_b32_e32 v11, v22
	v_addc_co_u32_e64 v40, s[0:1], v4, v10, s[0:1]
	v_lshlrev_b64 v[9:10], 3, v[19:20]
	v_mad_u64_u32 v[19:20], s[0:1], s3, v16, v[11:12]
	v_add_co_u32_e64 v41, s[0:1], v0, v9
	v_mov_b32_e32 v22, v19
	v_addc_co_u32_e64 v42, s[0:1], v4, v10, s[0:1]
	v_lshlrev_b64 v[9:10], 3, v[21:22]
	v_add_co_u32_e64 v19, s[0:1], v0, v9
	v_addc_co_u32_e64 v20, s[0:1], v4, v10, s[0:1]
	global_load_dwordx2 v[9:10], v[39:40], off
	global_load_dwordx2 v[35:36], v[41:42], off
	;; [unrolled: 1-line block ×3, first 2 shown]
.LBB0_14:
	s_or_b64 exec, exec, s[8:9]
.LBB0_15:
	s_or_b64 exec, exec, s[6:7]
	s_waitcnt vmcnt(6)
	v_add_f32_e32 v4, v29, v31
	v_add_f32_e32 v0, v12, v29
	v_fmac_f32_e32 v12, -0.5, v4
	v_sub_f32_e32 v4, v30, v32
	v_mov_b32_e32 v11, v12
	v_add_f32_e32 v0, v0, v31
	v_fmac_f32_e32 v11, 0x3f5db3d7, v4
	v_mad_u32_u24 v19, v3, 12, 0
	v_fmac_f32_e32 v12, 0xbf5db3d7, v4
	s_waitcnt vmcnt(3)
	v_add_f32_e32 v4, v33, v27
	ds_write2_b32 v19, v0, v11 offset1:1
	v_add_f32_e32 v0, v23, v27
	v_fmac_f32_e32 v23, -0.5, v4
	v_sub_f32_e32 v4, v28, v34
	v_mov_b32_e32 v11, v23
	v_add_f32_e32 v0, v33, v0
	v_fmac_f32_e32 v11, 0x3f5db3d7, v4
	v_mad_i32_i24 v41, v7, 12, 0
	v_fmac_f32_e32 v23, 0xbf5db3d7, v4
	s_waitcnt vmcnt(0)
	v_add_f32_e32 v4, v14, v25
	ds_write_b32 v19, v12 offset:8
	ds_write2_b32 v41, v0, v11 offset1:1
	v_add_f32_e32 v0, v17, v14
	v_fmac_f32_e32 v17, -0.5, v4
	v_sub_f32_e32 v4, v15, v26
	v_mov_b32_e32 v11, v17
	v_add_f32_e32 v0, v0, v25
	v_fmac_f32_e32 v11, 0x3f5db3d7, v4
	v_mad_i32_i24 v42, v8, 12, 0
	v_fmac_f32_e32 v17, 0xbf5db3d7, v4
	v_add_f32_e32 v4, v37, v35
	ds_write_b32 v41, v23 offset:8
	ds_write2_b32 v42, v0, v11 offset1:1
	v_add_f32_e32 v0, v9, v35
	v_fmac_f32_e32 v9, -0.5, v4
	v_add_f32_e32 v11, v37, v0
	v_mov_b32_e32 v12, v9
	v_sub_f32_e32 v0, v36, v38
	v_fmac_f32_e32 v12, 0x3f5db3d7, v0
	v_fmac_f32_e32 v9, 0xbf5db3d7, v0
	v_cmp_gt_u32_e64 s[0:1], 21, v3
	ds_write_b32 v42, v17 offset:8
	s_and_saveexec_b64 s[2:3], s[0:1]
	s_cbranch_execz .LBB0_17
; %bb.16:
	v_add_u32_e32 v0, 0x8dc, v19
	ds_write2_b32 v0, v11, v12 offset1:1
	ds_write_b32 v19, v9 offset:2276
.LBB0_17:
	s_or_b64 exec, exec, s[2:3]
	v_lshlrev_b32_e32 v0, 3, v3
	v_sub_u32_e32 v0, v19, v0
	v_add_u32_e32 v4, 0x400, v0
	v_lshlrev_b32_e32 v43, 3, v7
	v_lshlrev_b32_e32 v45, 3, v8
	s_waitcnt lgkmcnt(0)
	; wave barrier
	s_waitcnt lgkmcnt(0)
	ds_read2_b32 v[20:21], v4 offset0:164 offset1:227
	v_sub_u32_e32 v39, v41, v43
	ds_read2_b32 v[22:23], v4 offset0:17 offset1:80
	v_sub_u32_e32 v4, v42, v45
	ds_read2_b32 v[16:17], v0 offset1:210
	ds_read_b32 v4, v4
	ds_read_b32 v39, v39
	ds_read_b32 v40, v0 offset:2184
	s_and_saveexec_b64 s[2:3], s[0:1]
	s_cbranch_execz .LBB0_19
; %bb.18:
	v_add_u32_e32 v9, 0x280, v0
	ds_read2_b32 v[11:12], v9 offset0:29 offset1:239
	ds_read_b32 v9, v0 offset:2436
.LBB0_19:
	s_or_b64 exec, exec, s[2:3]
	v_sub_u32_e32 v44, 0, v43
	v_sub_u32_e32 v43, 0, v45
	v_add_f32_e32 v45, v13, v30
	v_add_f32_e32 v30, v30, v32
	v_fmac_f32_e32 v13, -0.5, v30
	v_sub_f32_e32 v29, v29, v31
	v_mov_b32_e32 v30, v13
	v_fmac_f32_e32 v30, 0xbf5db3d7, v29
	v_fmac_f32_e32 v13, 0x3f5db3d7, v29
	v_add_f32_e32 v29, v24, v28
	v_add_f32_e32 v28, v34, v28
	v_fmac_f32_e32 v24, -0.5, v28
	v_sub_f32_e32 v27, v27, v33
	v_mov_b32_e32 v28, v24
	v_fmac_f32_e32 v28, 0xbf5db3d7, v27
	v_fmac_f32_e32 v24, 0x3f5db3d7, v27
	v_add_f32_e32 v27, v18, v15
	v_add_f32_e32 v15, v15, v26
	v_fmac_f32_e32 v18, -0.5, v15
	v_sub_f32_e32 v14, v14, v25
	v_mov_b32_e32 v25, v18
	v_add_f32_e32 v15, v38, v36
	v_fmac_f32_e32 v25, 0xbf5db3d7, v14
	v_fmac_f32_e32 v18, 0x3f5db3d7, v14
	v_add_f32_e32 v14, v10, v36
	v_fmac_f32_e32 v10, -0.5, v15
	v_add_f32_e32 v27, v27, v26
	v_sub_f32_e32 v26, v35, v37
	v_mov_b32_e32 v15, v10
	v_add_f32_e32 v45, v45, v32
	v_add_f32_e32 v14, v38, v14
	v_fmac_f32_e32 v15, 0xbf5db3d7, v26
	v_fmac_f32_e32 v10, 0x3f5db3d7, v26
	v_add_f32_e32 v29, v34, v29
	s_waitcnt lgkmcnt(0)
	; wave barrier
	s_waitcnt lgkmcnt(0)
	ds_write2_b32 v19, v45, v30 offset1:1
	ds_write_b32 v19, v13 offset:8
	ds_write2_b32 v41, v29, v28 offset1:1
	ds_write_b32 v41, v24 offset:8
	;; [unrolled: 2-line block ×3, first 2 shown]
	s_and_saveexec_b64 s[2:3], s[0:1]
	s_cbranch_execz .LBB0_21
; %bb.20:
	v_add_u32_e32 v13, 0x8dc, v19
	ds_write2_b32 v13, v14, v15 offset1:1
	ds_write_b32 v19, v10 offset:2276
.LBB0_21:
	s_or_b64 exec, exec, s[2:3]
	v_add_u32_e32 v13, 0x400, v0
	v_add_u32_e32 v34, v42, v43
	s_waitcnt lgkmcnt(0)
	; wave barrier
	s_waitcnt lgkmcnt(0)
	ds_read2_b32 v[18:19], v0 offset1:210
	ds_read2_b32 v[24:25], v13 offset0:164 offset1:227
	v_add_u32_e32 v33, v41, v44
	ds_read2_b32 v[26:27], v13 offset0:17 offset1:80
	ds_read_b32 v28, v34
	ds_read_b32 v29, v33
	ds_read_b32 v13, v0 offset:2184
	s_and_saveexec_b64 s[2:3], s[0:1]
	s_cbranch_execz .LBB0_23
; %bb.22:
	v_add_u32_e32 v10, 0x280, v0
	ds_read2_b32 v[14:15], v10 offset0:29 offset1:239
	ds_read_b32 v10, v0 offset:2436
.LBB0_23:
	s_or_b64 exec, exec, s[2:3]
	s_movk_i32 s2, 0xab
	v_mul_lo_u16_sdwa v30, v8, s2 dst_sel:DWORD dst_unused:UNUSED_PAD src0_sel:BYTE_0 src1_sel:DWORD
	v_lshrrev_b16_e32 v35, 9, v30
	v_mul_lo_u16_e32 v30, 3, v35
	v_mov_b32_e32 v31, 4
	v_sub_u16_e32 v36, v8, v30
	v_lshlrev_b32_sdwa v30, v31, v36 dst_sel:DWORD dst_unused:UNUSED_PAD src0_sel:DWORD src1_sel:BYTE_0
	global_load_dwordx4 v[44:47], v30, s[12:13]
	v_mul_lo_u16_sdwa v30, v7, s2 dst_sel:DWORD dst_unused:UNUSED_PAD src0_sel:BYTE_0 src1_sel:DWORD
	v_lshrrev_b16_e32 v37, 9, v30
	v_mul_lo_u16_e32 v30, 3, v37
	v_sub_u16_e32 v38, v7, v30
	v_mul_lo_u16_sdwa v32, v3, s2 dst_sel:DWORD dst_unused:UNUSED_PAD src0_sel:BYTE_0 src1_sel:DWORD
	v_lshlrev_b32_sdwa v30, v31, v38 dst_sel:DWORD dst_unused:UNUSED_PAD src0_sel:DWORD src1_sel:BYTE_0
	v_lshrrev_b16_e32 v41, 9, v32
	global_load_dwordx4 v[48:51], v30, s[12:13]
	v_mul_lo_u16_e32 v30, 3, v41
	v_sub_u16_e32 v42, v3, v30
	v_lshlrev_b32_sdwa v30, v31, v42 dst_sel:DWORD dst_unused:UNUSED_PAD src0_sel:DWORD src1_sel:BYTE_0
	global_load_dwordx4 v[52:55], v30, s[12:13]
	v_add_u16_e32 v30, 0xbd, v3
	v_mul_lo_u16_sdwa v32, v30, s2 dst_sel:DWORD dst_unused:UNUSED_PAD src0_sel:BYTE_0 src1_sel:DWORD
	v_lshrrev_b16_e32 v60, 9, v32
	v_mul_lo_u16_e32 v32, 3, v60
	v_sub_u16_e32 v30, v30, v32
	v_lshlrev_b32_sdwa v31, v31, v30 dst_sel:DWORD dst_unused:UNUSED_PAD src0_sel:DWORD src1_sel:BYTE_0
	global_load_dwordx4 v[56:59], v31, s[12:13]
	v_mov_b32_e32 v32, 2
	v_mul_u32_u24_e32 v31, 36, v41
	v_mul_u32_u24_e32 v61, 36, v35
	v_lshlrev_b32_sdwa v35, v32, v42 dst_sel:DWORD dst_unused:UNUSED_PAD src0_sel:DWORD src1_sel:BYTE_0
	v_mul_u32_u24_e32 v37, 36, v37
	v_lshlrev_b32_sdwa v38, v32, v38 dst_sel:DWORD dst_unused:UNUSED_PAD src0_sel:DWORD src1_sel:BYTE_0
	v_add3_u32 v31, 0, v31, v35
	v_lshlrev_b32_sdwa v62, v32, v36 dst_sel:DWORD dst_unused:UNUSED_PAD src0_sel:DWORD src1_sel:BYTE_0
	v_add3_u32 v36, 0, v37, v38
	s_waitcnt lgkmcnt(0)
	; wave barrier
	s_waitcnt vmcnt(3) lgkmcnt(0)
	v_mul_f32_e32 v43, v13, v47
	v_mul_f32_e32 v35, v40, v47
	;; [unrolled: 1-line block ×4, first 2 shown]
	v_fma_f32 v40, v40, v46, -v43
	v_fmac_f32_e32 v35, v13, v46
	v_fmac_f32_e32 v38, v27, v44
	v_fma_f32 v13, v23, v44, -v37
	s_waitcnt vmcnt(2)
	v_mul_f32_e32 v45, v26, v49
	v_mul_f32_e32 v41, v22, v49
	;; [unrolled: 1-line block ×4, first 2 shown]
	s_waitcnt vmcnt(1)
	v_mul_f32_e32 v49, v24, v55
	v_mul_f32_e32 v43, v20, v55
	v_mul_f32_e32 v46, v19, v53
	v_fma_f32 v20, v20, v54, -v49
	v_fmac_f32_e32 v43, v24, v54
	v_fma_f32 v24, v17, v52, -v46
	v_mul_f32_e32 v23, v17, v53
	s_waitcnt vmcnt(0)
	v_mul_f32_e32 v27, v9, v59
	v_mul_f32_e32 v44, v10, v59
	v_fma_f32 v22, v22, v48, -v45
	v_mul_f32_e32 v37, v12, v57
	v_fma_f32 v21, v21, v50, -v47
	v_fmac_f32_e32 v27, v10, v58
	v_add_f32_e32 v10, v24, v20
	v_mul_f32_e32 v51, v15, v57
	v_fmac_f32_e32 v42, v25, v50
	v_fmac_f32_e32 v23, v19, v52
	v_fma_f32 v17, v9, v58, -v44
	v_fmac_f32_e32 v37, v15, v56
	v_add_f32_e32 v9, v16, v24
	v_add_f32_e32 v15, v39, v22
	v_add_f32_e32 v25, v22, v21
	v_fmac_f32_e32 v16, -0.5, v10
	v_fmac_f32_e32 v41, v26, v48
	v_fma_f32 v19, v12, v56, -v51
	v_sub_f32_e32 v12, v23, v43
	v_add_f32_e32 v45, v13, v40
	v_fmac_f32_e32 v39, -0.5, v25
	v_add_f32_e32 v10, v15, v21
	v_mov_b32_e32 v15, v16
	v_sub_f32_e32 v26, v41, v42
	v_add_f32_e32 v44, v4, v13
	v_add_f32_e32 v9, v9, v20
	v_fmac_f32_e32 v4, -0.5, v45
	v_fmac_f32_e32 v16, 0xbf5db3d7, v12
	v_mov_b32_e32 v25, v39
	v_fmac_f32_e32 v15, 0x3f5db3d7, v12
	v_fmac_f32_e32 v39, 0xbf5db3d7, v26
	ds_write_b32 v31, v16 offset:24
	v_fmac_f32_e32 v25, 0x3f5db3d7, v26
	ds_write2_b32 v31, v9, v15 offset1:3
	ds_write2_b32 v36, v10, v25 offset1:3
	ds_write_b32 v36, v39 offset:24
	v_sub_f32_e32 v9, v38, v35
	v_mov_b32_e32 v10, v4
	v_add3_u32 v15, 0, v61, v62
	v_fmac_f32_e32 v10, 0x3f5db3d7, v9
	v_add_f32_e32 v12, v44, v40
	ds_write2_b32 v15, v12, v10 offset1:3
	v_add_f32_e32 v10, v19, v17
	v_fma_f32 v10, -0.5, v10, v11
	v_fmac_f32_e32 v4, 0xbf5db3d7, v9
	v_mov_b32_e32 v9, v10
	v_sub_f32_e32 v12, v37, v27
	v_fmac_f32_e32 v9, 0x3f5db3d7, v12
	v_fmac_f32_e32 v10, 0xbf5db3d7, v12
	v_mul_u32_u24_e32 v39, 36, v60
	ds_write_b32 v15, v4 offset:24
	s_and_saveexec_b64 s[2:3], s[0:1]
	s_cbranch_execz .LBB0_25
; %bb.24:
	v_add_f32_e32 v4, v11, v19
	v_lshlrev_b32_sdwa v11, v32, v30 dst_sel:DWORD dst_unused:UNUSED_PAD src0_sel:DWORD src1_sel:BYTE_0
	v_add_f32_e32 v4, v4, v17
	v_add3_u32 v11, 0, v39, v11
	ds_write2_b32 v11, v4, v9 offset1:3
	ds_write_b32 v11, v10 offset:24
.LBB0_25:
	s_or_b64 exec, exec, s[2:3]
	v_add_f32_e32 v4, v18, v23
	v_add_f32_e32 v32, v4, v43
	v_add_f32_e32 v4, v23, v43
	v_fmac_f32_e32 v18, -0.5, v4
	v_sub_f32_e32 v4, v24, v20
	v_mov_b32_e32 v43, v18
	v_fmac_f32_e32 v43, 0xbf5db3d7, v4
	v_fmac_f32_e32 v18, 0x3f5db3d7, v4
	v_add_f32_e32 v4, v29, v41
	v_add_f32_e32 v44, v4, v42
	v_add_f32_e32 v4, v41, v42
	v_fmac_f32_e32 v29, -0.5, v4
	v_sub_f32_e32 v4, v22, v21
	v_mov_b32_e32 v41, v29
	v_fmac_f32_e32 v41, 0xbf5db3d7, v4
	v_fmac_f32_e32 v29, 0x3f5db3d7, v4
	;; [unrolled: 8-line block ×3, first 2 shown]
	v_add_f32_e32 v4, v37, v27
	v_fma_f32 v12, -0.5, v4, v14
	v_sub_f32_e32 v4, v19, v17
	v_mov_b32_e32 v11, v12
	v_add_u32_e32 v16, 0x400, v0
	v_fmac_f32_e32 v11, 0xbf5db3d7, v4
	v_fmac_f32_e32 v12, 0x3f5db3d7, v4
	s_waitcnt lgkmcnt(0)
	; wave barrier
	s_waitcnt lgkmcnt(0)
	ds_read2_b32 v[19:20], v0 offset1:189
	v_lshl_add_u32 v35, v3, 2, 0
	ds_read2_b32 v[23:24], v16 offset0:59 offset1:122
	ds_read2_b32 v[21:22], v16 offset0:185 offset1:248
	ds_read_b32 v26, v34
	ds_read_b32 v13, v33
	ds_read_b32 v25, v35 offset:1008
	ds_read_b32 v4, v0 offset:2268
	s_waitcnt lgkmcnt(0)
	; wave barrier
	s_waitcnt lgkmcnt(0)
	ds_write2_b32 v31, v32, v43 offset1:3
	ds_write_b32 v31, v18 offset:24
	ds_write2_b32 v36, v44, v41 offset1:3
	ds_write_b32 v36, v29 offset:24
	;; [unrolled: 2-line block ×3, first 2 shown]
	s_and_saveexec_b64 s[2:3], s[0:1]
	s_cbranch_execz .LBB0_27
; %bb.26:
	v_mov_b32_e32 v15, 2
	v_add_f32_e32 v14, v14, v37
	v_lshlrev_b32_sdwa v15, v15, v30 dst_sel:DWORD dst_unused:UNUSED_PAD src0_sel:DWORD src1_sel:BYTE_0
	v_add_f32_e32 v14, v14, v27
	v_add3_u32 v15, 0, v39, v15
	ds_write2_b32 v15, v14, v11 offset1:3
	ds_write_b32 v15, v12 offset:24
.LBB0_27:
	s_or_b64 exec, exec, s[2:3]
	v_mov_b32_e32 v14, 57
	v_mul_lo_u16_sdwa v15, v3, v14 dst_sel:DWORD dst_unused:UNUSED_PAD src0_sel:BYTE_0 src1_sel:DWORD
	v_lshrrev_b16_e32 v61, 9, v15
	v_mul_lo_u16_e32 v15, 9, v61
	v_mul_lo_u16_sdwa v14, v7, v14 dst_sel:DWORD dst_unused:UNUSED_PAD src0_sel:BYTE_0 src1_sel:DWORD
	v_sub_u16_e32 v27, v3, v15
	v_mov_b32_e32 v15, 5
	v_lshrrev_b16_e32 v62, 9, v14
	v_lshlrev_b32_sdwa v17, v15, v27 dst_sel:DWORD dst_unused:UNUSED_PAD src0_sel:DWORD src1_sel:BYTE_0
	v_mul_lo_u16_e32 v14, 9, v62
	s_waitcnt lgkmcnt(0)
	; wave barrier
	s_waitcnt lgkmcnt(0)
	global_load_dwordx4 v[41:44], v17, s[12:13] offset:48
	global_load_dwordx4 v[45:48], v17, s[12:13] offset:64
	v_sub_u16_e32 v14, v7, v14
	v_lshlrev_b32_sdwa v15, v15, v14 dst_sel:DWORD dst_unused:UNUSED_PAD src0_sel:DWORD src1_sel:BYTE_0
	global_load_dwordx4 v[49:52], v15, s[12:13] offset:48
	global_load_dwordx4 v[53:56], v15, s[12:13] offset:64
	ds_read2_b32 v[17:18], v0 offset1:189
	ds_read2_b32 v[57:58], v16 offset0:59 offset1:122
	ds_read2_b32 v[59:60], v16 offset0:185 offset1:248
	ds_read_b32 v28, v34
	ds_read_b32 v15, v33
	ds_read_b32 v29, v35 offset:1008
	ds_read_b32 v63, v0 offset:2268
	v_mov_b32_e32 v30, 2
	v_lshlrev_b32_sdwa v64, v30, v27 dst_sel:DWORD dst_unused:UNUSED_PAD src0_sel:DWORD src1_sel:BYTE_0
	v_lshlrev_b32_sdwa v65, v30, v14 dst_sel:DWORD dst_unused:UNUSED_PAD src0_sel:DWORD src1_sel:BYTE_0
	s_waitcnt lgkmcnt(0)
	; wave barrier
	s_waitcnt lgkmcnt(0)
	v_cmp_gt_u32_e64 s[0:1], 27, v3
	s_waitcnt vmcnt(3)
	v_mul_f32_e32 v14, v28, v42
	v_mul_f32_e32 v30, v26, v42
	;; [unrolled: 1-line block ×4, first 2 shown]
	s_waitcnt vmcnt(2)
	v_mul_f32_e32 v38, v58, v46
	v_mul_f32_e32 v39, v60, v48
	v_fma_f32 v40, v26, v41, -v14
	s_waitcnt vmcnt(1)
	v_mul_f32_e32 v27, v20, v50
	v_fmac_f32_e32 v30, v28, v41
	v_mul_f32_e32 v14, v57, v52
	v_fma_f32 v41, v25, v43, -v32
	v_fmac_f32_e32 v31, v29, v43
	v_fma_f32 v43, v24, v45, -v38
	v_mul_f32_e32 v37, v22, v48
	v_mul_f32_e32 v42, v18, v50
	s_waitcnt vmcnt(0)
	v_mul_f32_e32 v26, v63, v56
	v_fma_f32 v44, v22, v47, -v39
	v_fmac_f32_e32 v27, v18, v49
	v_fma_f32 v18, v23, v51, -v14
	v_add_f32_e32 v14, v41, v43
	v_mul_f32_e32 v36, v24, v46
	v_mul_f32_e32 v32, v4, v56
	v_fmac_f32_e32 v37, v60, v47
	v_fma_f32 v38, v20, v49, -v42
	v_fma_f32 v42, v4, v55, -v26
	v_add_f32_e32 v4, v19, v40
	v_add_f32_e32 v24, v40, v44
	v_fma_f32 v47, -0.5, v14, v19
	v_mul_f32_e32 v25, v59, v54
	v_fmac_f32_e32 v36, v58, v45
	v_sub_f32_e32 v20, v30, v37
	v_add_f32_e32 v4, v4, v41
	v_fmac_f32_e32 v19, -0.5, v24
	v_mov_b32_e32 v24, v47
	v_mul_f32_e32 v28, v23, v52
	v_mul_f32_e32 v29, v21, v54
	v_fma_f32 v39, v21, v53, -v25
	v_sub_f32_e32 v21, v31, v36
	v_sub_f32_e32 v22, v40, v41
	;; [unrolled: 1-line block ×5, first 2 shown]
	v_add_f32_e32 v4, v4, v43
	v_fmac_f32_e32 v47, 0xbf737871, v20
	v_fmac_f32_e32 v24, 0x3f737871, v20
	v_add_f32_e32 v14, v22, v23
	v_add_f32_e32 v22, v25, v26
	v_mov_b32_e32 v25, v19
	v_add_f32_e32 v26, v4, v44
	v_fmac_f32_e32 v47, 0xbf167918, v21
	v_fmac_f32_e32 v24, 0x3f167918, v21
	v_add_f32_e32 v4, v18, v39
	v_fmac_f32_e32 v32, v63, v55
	v_fmac_f32_e32 v19, 0x3f737871, v21
	;; [unrolled: 1-line block ×5, first 2 shown]
	v_fma_f32 v14, -0.5, v4, v13
	v_fmac_f32_e32 v28, v57, v51
	v_fmac_f32_e32 v29, v59, v53
	v_add_f32_e32 v45, v13, v38
	v_fmac_f32_e32 v19, 0xbf167918, v20
	v_fmac_f32_e32 v25, 0x3f167918, v20
	v_sub_f32_e32 v20, v27, v32
	v_mov_b32_e32 v21, v14
	v_add_f32_e32 v23, v45, v18
	v_fmac_f32_e32 v19, 0x3e9e377a, v22
	v_fmac_f32_e32 v25, 0x3e9e377a, v22
	;; [unrolled: 1-line block ×3, first 2 shown]
	v_sub_f32_e32 v22, v28, v29
	v_sub_f32_e32 v4, v38, v18
	v_sub_f32_e32 v45, v42, v39
	v_fmac_f32_e32 v14, 0xbf737871, v20
	v_fmac_f32_e32 v21, 0x3f167918, v22
	v_add_f32_e32 v4, v4, v45
	v_fmac_f32_e32 v14, 0xbf167918, v22
	v_fmac_f32_e32 v21, 0x3e9e377a, v4
	;; [unrolled: 1-line block ×3, first 2 shown]
	v_add_f32_e32 v4, v38, v42
	v_fmac_f32_e32 v13, -0.5, v4
	v_mov_b32_e32 v4, v13
	v_fmac_f32_e32 v4, 0xbf737871, v22
	v_fmac_f32_e32 v13, 0x3f737871, v22
	;; [unrolled: 1-line block ×3, first 2 shown]
	v_sub_f32_e32 v45, v18, v38
	v_sub_f32_e32 v46, v39, v42
	v_fmac_f32_e32 v13, 0xbf167918, v20
	v_mul_u32_u24_e32 v20, 0xb4, v61
	v_add_f32_e32 v45, v45, v46
	v_add3_u32 v46, 0, v20, v64
	v_add_f32_e32 v23, v23, v39
	ds_write2_b32 v46, v26, v24 offset1:9
	ds_write2_b32 v46, v25, v19 offset0:18 offset1:27
	ds_write_b32 v46, v47 offset:144
	v_mul_u32_u24_e32 v19, 0xb4, v62
	v_add_f32_e32 v23, v23, v42
	v_add3_u32 v47, 0, v19, v65
	v_add_u32_e32 v48, 0x200, v0
	v_fmac_f32_e32 v4, 0x3e9e377a, v45
	v_fmac_f32_e32 v13, 0x3e9e377a, v45
	ds_write2_b32 v47, v23, v21 offset1:9
	ds_write2_b32 v47, v4, v13 offset0:18 offset1:27
	ds_write_b32 v47, v14 offset:144
	s_waitcnt lgkmcnt(0)
	; wave barrier
	s_waitcnt lgkmcnt(0)
	ds_read2_b32 v[19:20], v0 offset1:90
	ds_read2_b32 v[25:26], v48 offset0:52 offset1:142
	ds_read2_b32 v[23:24], v16 offset0:104 offset1:194
	ds_read_b32 v45, v0 offset:2160
                                        ; implicit-def: $vgpr22
	s_and_saveexec_b64 s[2:3], s[0:1]
	s_cbranch_execz .LBB0_29
; %bb.28:
	v_add_u32_e32 v9, 0x400, v0
	v_add_u32_e32 v16, 0x800, v0
	ds_read_b32 v4, v33
	ds_read2_b32 v[13:14], v0 offset0:153 offset1:243
	ds_read2_b32 v[9:10], v9 offset0:77 offset1:167
	ds_read2_b32 v[21:22], v16 offset0:1 offset1:91
.LBB0_29:
	s_or_b64 exec, exec, s[2:3]
	v_add_f32_e32 v16, v17, v30
	v_add_f32_e32 v16, v16, v31
	;; [unrolled: 1-line block ×5, first 2 shown]
	v_fma_f32 v50, -0.5, v16, v17
	v_sub_f32_e32 v16, v40, v44
	v_mov_b32_e32 v40, v50
	v_fmac_f32_e32 v40, 0xbf737871, v16
	v_sub_f32_e32 v41, v41, v43
	v_sub_f32_e32 v43, v30, v31
	;; [unrolled: 1-line block ×3, first 2 shown]
	v_fmac_f32_e32 v50, 0x3f737871, v16
	v_fmac_f32_e32 v40, 0xbf167918, v41
	v_add_f32_e32 v43, v43, v44
	v_fmac_f32_e32 v50, 0x3f167918, v41
	v_fmac_f32_e32 v40, 0x3e9e377a, v43
	;; [unrolled: 1-line block ×3, first 2 shown]
	v_add_f32_e32 v43, v30, v37
	v_fmac_f32_e32 v17, -0.5, v43
	v_mov_b32_e32 v43, v17
	v_fmac_f32_e32 v43, 0x3f737871, v41
	v_fmac_f32_e32 v17, 0xbf737871, v41
	v_fmac_f32_e32 v43, 0xbf167918, v16
	v_fmac_f32_e32 v17, 0x3f167918, v16
	v_add_f32_e32 v16, v15, v27
	v_sub_f32_e32 v30, v31, v30
	v_sub_f32_e32 v31, v36, v37
	v_add_f32_e32 v16, v16, v28
	v_add_f32_e32 v30, v30, v31
	;; [unrolled: 1-line block ×3, first 2 shown]
	v_fmac_f32_e32 v43, 0x3e9e377a, v30
	v_fmac_f32_e32 v17, 0x3e9e377a, v30
	v_add_f32_e32 v30, v16, v32
	v_add_f32_e32 v16, v28, v29
	v_fma_f32 v16, -0.5, v16, v15
	v_sub_f32_e32 v31, v38, v42
	v_mov_b32_e32 v37, v16
	v_fmac_f32_e32 v37, 0xbf737871, v31
	v_sub_f32_e32 v18, v18, v39
	v_sub_f32_e32 v36, v27, v28
	;; [unrolled: 1-line block ×3, first 2 shown]
	v_fmac_f32_e32 v16, 0x3f737871, v31
	v_fmac_f32_e32 v37, 0xbf167918, v18
	v_add_f32_e32 v36, v36, v38
	v_fmac_f32_e32 v16, 0x3f167918, v18
	v_fmac_f32_e32 v37, 0x3e9e377a, v36
	;; [unrolled: 1-line block ×3, first 2 shown]
	v_add_f32_e32 v36, v27, v32
	v_fmac_f32_e32 v15, -0.5, v36
	v_mov_b32_e32 v36, v15
	v_fmac_f32_e32 v36, 0x3f737871, v18
	v_sub_f32_e32 v27, v28, v27
	v_sub_f32_e32 v28, v29, v32
	v_fmac_f32_e32 v15, 0xbf737871, v18
	v_fmac_f32_e32 v36, 0xbf167918, v31
	v_add_f32_e32 v27, v27, v28
	v_fmac_f32_e32 v15, 0x3f167918, v31
	v_fmac_f32_e32 v36, 0x3e9e377a, v27
	;; [unrolled: 1-line block ×3, first 2 shown]
	v_add_u32_e32 v27, 0x400, v0
	s_waitcnt lgkmcnt(0)
	; wave barrier
	s_waitcnt lgkmcnt(0)
	ds_write2_b32 v46, v49, v40 offset1:9
	ds_write2_b32 v46, v43, v17 offset0:18 offset1:27
	ds_write_b32 v46, v50 offset:144
	ds_write2_b32 v47, v30, v37 offset1:9
	ds_write2_b32 v47, v36, v15 offset0:18 offset1:27
	ds_write_b32 v47, v16 offset:144
	s_waitcnt lgkmcnt(0)
	; wave barrier
	s_waitcnt lgkmcnt(0)
	ds_read2_b32 v[17:18], v0 offset1:90
	ds_read2_b32 v[31:32], v48 offset0:52 offset1:142
	ds_read2_b32 v[29:30], v27 offset0:104 offset1:194
	ds_read_b32 v39, v0 offset:2160
                                        ; implicit-def: $vgpr28
	s_and_saveexec_b64 s[2:3], s[0:1]
	s_cbranch_execz .LBB0_31
; %bb.30:
	ds_read_b32 v36, v33
	ds_read2_b32 v[15:16], v0 offset0:153 offset1:243
	ds_read2_b32 v[11:12], v27 offset0:77 offset1:167
	v_add_u32_e32 v27, 0x800, v0
	ds_read2_b32 v[27:28], v27 offset0:1 offset1:91
.LBB0_31:
	s_or_b64 exec, exec, s[2:3]
	v_subrev_u32_e32 v37, 45, v3
	v_cmp_gt_u32_e64 s[2:3], 45, v3
	v_cndmask_b32_e64 v54, v37, v3, s[2:3]
	v_mul_i32_i24_e32 v37, 6, v54
	v_mov_b32_e32 v38, 0
	v_lshlrev_b64 v[37:38], 3, v[37:38]
	v_mov_b32_e32 v40, s13
	v_add_co_u32_e64 v37, s[2:3], s12, v37
	v_addc_co_u32_e64 v38, s[2:3], v40, v38, s[2:3]
	global_load_dwordx4 v[40:43], v[37:38], off offset:368
	global_load_dwordx4 v[46:49], v[37:38], off offset:352
	;; [unrolled: 1-line block ×3, first 2 shown]
	s_movk_i32 s2, 0x6d
	s_mov_b32 s6, 0x3f5ff5aa
	s_mov_b32 s7, 0x3f3bfb3b
	;; [unrolled: 1-line block ×4, first 2 shown]
	s_waitcnt vmcnt(2)
	v_mul_f32_e32 v38, v45, v43
	s_waitcnt lgkmcnt(0)
	v_fmac_f32_e32 v38, v39, v42
	s_waitcnt vmcnt(0)
	v_mul_f32_e32 v37, v18, v51
	v_fma_f32 v37, v20, v50, -v37
	v_mul_f32_e32 v20, v20, v51
	v_fmac_f32_e32 v20, v18, v50
	v_mul_f32_e32 v18, v31, v53
	v_fma_f32 v18, v25, v52, -v18
	v_mul_f32_e32 v25, v25, v53
	v_fmac_f32_e32 v25, v31, v52
	;; [unrolled: 4-line block ×5, first 2 shown]
	v_mul_f32_e32 v30, v39, v43
	v_mul_lo_u16_sdwa v39, v7, s2 dst_sel:DWORD dst_unused:UNUSED_PAD src0_sel:BYTE_0 src1_sel:DWORD
	v_sub_u16_sdwa v40, v7, v39 dst_sel:DWORD dst_unused:UNUSED_PAD src0_sel:DWORD src1_sel:BYTE_1
	v_lshrrev_b16_e32 v40, 1, v40
	v_and_b32_e32 v40, 0x7f, v40
	v_add_u16_sdwa v39, v40, v39 dst_sel:DWORD dst_unused:UNUSED_PAD src0_sel:DWORD src1_sel:BYTE_1
	v_lshrrev_b16_e32 v39, 5, v39
	v_mul_lo_u16_e32 v39, 45, v39
	v_sub_u16_e32 v39, v7, v39
	v_and_b32_e32 v55, 0xff, v39
	v_mul_u32_u24_e32 v39, 6, v55
	v_lshlrev_b32_e32 v39, 3, v39
	v_fma_f32 v30, v45, v42, -v30
	global_load_dwordx4 v[46:49], v39, s[12:13] offset:368
	global_load_dwordx4 v[50:53], v39, s[12:13] offset:352
	global_load_dwordx4 v[41:44], v39, s[12:13] offset:336
	v_cmp_lt_u32_e64 s[2:3], 44, v3
	s_waitcnt lgkmcnt(0)
	; wave barrier
	s_waitcnt vmcnt(0)
	v_mul_f32_e32 v39, v15, v42
	v_fma_f32 v39, v13, v41, -v39
	v_mul_f32_e32 v40, v13, v42
	v_mul_f32_e32 v13, v16, v44
	v_fmac_f32_e32 v40, v15, v41
	v_fma_f32 v41, v14, v43, -v13
	v_mul_f32_e32 v42, v14, v44
	v_mul_f32_e32 v13, v11, v51
	v_fmac_f32_e32 v42, v16, v43
	v_fma_f32 v16, v9, v50, -v13
	v_mul_f32_e32 v9, v9, v51
	v_fmac_f32_e32 v9, v11, v50
	v_mul_f32_e32 v11, v12, v53
	v_fma_f32 v43, v10, v52, -v11
	v_mul_f32_e32 v44, v10, v53
	v_mul_f32_e32 v10, v27, v47
	v_fma_f32 v45, v21, v46, -v10
	v_mul_f32_e32 v21, v21, v47
	v_mul_f32_e32 v10, v28, v49
	v_fmac_f32_e32 v44, v12, v52
	v_fmac_f32_e32 v21, v27, v46
	v_fma_f32 v27, v22, v48, -v10
	v_mul_f32_e32 v22, v22, v49
	v_add_f32_e32 v10, v37, v30
	v_add_f32_e32 v12, v18, v29
	v_fmac_f32_e32 v22, v28, v48
	v_add_f32_e32 v14, v31, v32
	v_add_f32_e32 v28, v12, v10
	v_sub_f32_e32 v13, v25, v24
	v_sub_f32_e32 v15, v23, v26
	;; [unrolled: 1-line block ×5, first 2 shown]
	v_add_f32_e32 v14, v14, v28
	v_sub_f32_e32 v11, v20, v38
	v_add_f32_e32 v47, v15, v13
	v_sub_f32_e32 v48, v15, v13
	;; [unrolled: 2-line block ×3, first 2 shown]
	v_sub_f32_e32 v13, v13, v11
	v_add_f32_e32 v11, v47, v11
	v_mul_f32_e32 v10, 0x3f4a47b2, v10
	v_mul_f32_e32 v28, 0x3d64c772, v12
	v_mul_f32_e32 v47, 0xbf08b237, v48
	v_mov_b32_e32 v49, v19
	v_mul_f32_e32 v48, 0x3f5ff5aa, v13
	v_fmac_f32_e32 v49, 0xbf955555, v14
	v_fma_f32 v14, v46, s7, -v28
	v_fma_f32 v28, v46, s8, -v10
	v_fmac_f32_e32 v10, 0x3d64c772, v12
	v_fma_f32 v12, v13, s6, -v47
	v_fma_f32 v13, v15, s9, -v48
	v_add_f32_e32 v14, v14, v49
	v_fmac_f32_e32 v12, 0x3ee1c552, v11
	v_fmac_f32_e32 v47, 0x3eae86e6, v15
	v_add_f32_e32 v15, v28, v49
	v_fmac_f32_e32 v13, 0x3ee1c552, v11
	v_sub_f32_e32 v48, v14, v12
	v_add_f32_e32 v12, v12, v14
	v_mov_b32_e32 v14, 0x4ec
	v_add_f32_e32 v10, v10, v49
	v_fmac_f32_e32 v47, 0x3ee1c552, v11
	v_add_f32_e32 v28, v13, v15
	v_sub_f32_e32 v13, v15, v13
	v_cndmask_b32_e64 v14, 0, v14, s[2:3]
	v_lshlrev_b32_e32 v15, 2, v54
	v_add_f32_e32 v11, v47, v10
	v_add3_u32 v46, 0, v14, v15
	v_sub_f32_e32 v10, v10, v47
	ds_write2_b32 v46, v19, v11 offset1:45
	ds_write2_b32 v46, v28, v48 offset0:90 offset1:135
	ds_write2_b32 v46, v12, v13 offset0:180 offset1:225
	ds_write_b32 v46, v10 offset:1080
	v_lshl_add_u32 v28, v55, 2, 0
	s_and_saveexec_b64 s[2:3], s[0:1]
	s_cbranch_execz .LBB0_33
; %bb.32:
	v_add_f32_e32 v10, v39, v27
	v_add_f32_e32 v11, v16, v43
	v_sub_f32_e32 v12, v10, v11
	v_mul_f32_e32 v12, 0x3f4a47b2, v12
	v_add_f32_e32 v13, v41, v45
	v_sub_f32_e32 v14, v11, v13
	v_mov_b32_e32 v19, v12
	v_mul_f32_e32 v15, 0x3d64c772, v14
	v_fmac_f32_e32 v19, 0x3d64c772, v14
	v_add_f32_e32 v14, v13, v10
	v_add_f32_e32 v11, v11, v14
	;; [unrolled: 1-line block ×3, first 2 shown]
	v_mov_b32_e32 v14, v4
	v_sub_f32_e32 v47, v44, v9
	v_sub_f32_e32 v49, v42, v21
	v_fmac_f32_e32 v14, 0xbf955555, v11
	v_sub_f32_e32 v50, v47, v49
	v_add_f32_e32 v11, v19, v14
	v_sub_f32_e32 v19, v40, v22
	v_mul_f32_e32 v50, 0xbf08b237, v50
	v_sub_f32_e32 v48, v19, v47
	v_mov_b32_e32 v51, v50
	v_add_f32_e32 v47, v47, v49
	v_sub_f32_e32 v10, v13, v10
	v_sub_f32_e32 v13, v49, v19
	v_fmac_f32_e32 v51, 0x3eae86e6, v48
	v_add_f32_e32 v47, v47, v19
	v_fma_f32 v12, v10, s8, -v12
	v_mul_f32_e32 v19, 0x3f5ff5aa, v13
	v_fma_f32 v13, v13, s6, -v50
	v_fma_f32 v10, v10, s7, -v15
	v_fmac_f32_e32 v51, 0x3ee1c552, v47
	v_fma_f32 v19, v48, s9, -v19
	v_fmac_f32_e32 v13, 0x3ee1c552, v47
	v_add_f32_e32 v10, v10, v14
	v_sub_f32_e32 v52, v11, v51
	v_add_f32_e32 v12, v12, v14
	v_fmac_f32_e32 v19, 0x3ee1c552, v47
	v_add_f32_e32 v14, v13, v10
	v_sub_f32_e32 v10, v10, v13
	v_add_f32_e32 v11, v51, v11
	v_add_u32_e32 v13, 0x400, v28
	v_sub_f32_e32 v48, v12, v19
	v_add_f32_e32 v12, v19, v12
	ds_write2_b32 v13, v4, v11 offset0:59 offset1:104
	ds_write2_b32 v13, v12, v10 offset0:149 offset1:194
	v_add_u32_e32 v4, 0x600, v28
	ds_write2_b32 v4, v14, v48 offset0:111 offset1:156
	ds_write_b32 v28, v52 offset:2340
.LBB0_33:
	s_or_b64 exec, exec, s[2:3]
	v_add_f32_e32 v4, v20, v38
	v_add_f32_e32 v11, v25, v24
	;; [unrolled: 1-line block ×4, first 2 shown]
	v_sub_f32_e32 v10, v37, v30
	v_sub_f32_e32 v12, v18, v29
	;; [unrolled: 1-line block ×6, first 2 shown]
	v_add_f32_e32 v13, v13, v15
	v_add_f32_e32 v19, v14, v12
	v_sub_f32_e32 v20, v14, v12
	v_sub_f32_e32 v12, v12, v10
	v_add_f32_e32 v23, v17, v13
	v_sub_f32_e32 v14, v10, v14
	v_add_f32_e32 v10, v19, v10
	v_mul_f32_e32 v4, 0x3f4a47b2, v4
	v_mul_f32_e32 v15, 0x3d64c772, v11
	;; [unrolled: 1-line block ×4, first 2 shown]
	v_mov_b32_e32 v20, v23
	v_fmac_f32_e32 v20, 0xbf955555, v13
	v_fma_f32 v13, v18, s7, -v15
	v_fma_f32 v15, v18, s8, -v4
	v_fmac_f32_e32 v4, 0x3d64c772, v11
	v_fma_f32 v11, v12, s6, -v17
	v_fma_f32 v12, v14, s9, -v19
	v_fmac_f32_e32 v17, 0x3eae86e6, v14
	v_add_f32_e32 v14, v15, v20
	v_fmac_f32_e32 v12, 0x3ee1c552, v10
	v_add_f32_e32 v4, v4, v20
	v_add_f32_e32 v13, v13, v20
	v_fmac_f32_e32 v17, 0x3ee1c552, v10
	v_fmac_f32_e32 v11, 0x3ee1c552, v10
	v_sub_f32_e32 v25, v14, v12
	v_add_f32_e32 v30, v12, v14
	v_add_u32_e32 v12, 0x400, v0
	v_sub_f32_e32 v24, v4, v17
	v_add_f32_e32 v26, v11, v13
	v_sub_f32_e32 v29, v13, v11
	v_add_f32_e32 v4, v17, v4
	s_waitcnt lgkmcnt(0)
	; wave barrier
	s_waitcnt lgkmcnt(0)
	ds_read_b32 v17, v0
	ds_read2_b32 v[10:11], v12 offset0:59 offset1:122
	ds_read_b32 v18, v34
	ds_read2_b32 v[14:15], v12 offset0:185 offset1:248
	ds_read2_b32 v[12:13], v35 offset0:189 offset1:252
	ds_read_b32 v19, v33
	ds_read_b32 v20, v0 offset:2268
	s_waitcnt lgkmcnt(0)
	; wave barrier
	s_waitcnt lgkmcnt(0)
	ds_write2_b32 v46, v23, v24 offset1:45
	ds_write2_b32 v46, v25, v26 offset0:90 offset1:135
	ds_write2_b32 v46, v29, v30 offset0:180 offset1:225
	ds_write_b32 v46, v4 offset:1080
	s_and_saveexec_b64 s[2:3], s[0:1]
	s_cbranch_execz .LBB0_35
; %bb.34:
	v_add_f32_e32 v4, v40, v22
	v_add_f32_e32 v21, v42, v21
	;; [unrolled: 1-line block ×4, first 2 shown]
	v_sub_f32_e32 v23, v41, v45
	v_sub_f32_e32 v16, v43, v16
	v_sub_f32_e32 v25, v21, v4
	v_sub_f32_e32 v4, v4, v9
	v_sub_f32_e32 v21, v9, v21
	v_add_f32_e32 v9, v9, v24
	v_sub_f32_e32 v22, v39, v27
	v_add_f32_e32 v26, v16, v23
	v_add_f32_e32 v24, v36, v9
	v_sub_f32_e32 v27, v16, v23
	v_sub_f32_e32 v16, v22, v16
	;; [unrolled: 1-line block ×3, first 2 shown]
	v_add_f32_e32 v22, v26, v22
	v_mul_f32_e32 v26, 0x3d64c772, v21
	v_mov_b32_e32 v30, v24
	s_mov_b32 s1, 0x3f3bfb3b
	v_mul_f32_e32 v4, 0x3f4a47b2, v4
	v_mul_f32_e32 v27, 0xbf08b237, v27
	s_mov_b32 s0, 0x3f5ff5aa
	v_fmac_f32_e32 v30, 0xbf955555, v9
	v_fma_f32 v9, v25, s1, -v26
	s_mov_b32 s1, 0xbf3bfb3b
	v_mul_f32_e32 v29, 0x3f5ff5aa, v23
	v_fma_f32 v25, v25, s1, -v4
	v_fmac_f32_e32 v4, 0x3d64c772, v21
	v_fma_f32 v21, v23, s0, -v27
	v_fmac_f32_e32 v27, 0x3eae86e6, v16
	s_mov_b32 s0, 0xbeae86e6
	v_fma_f32 v16, v16, s0, -v29
	v_add_f32_e32 v4, v4, v30
	v_add_f32_e32 v9, v9, v30
	v_fmac_f32_e32 v27, 0x3ee1c552, v22
	v_fmac_f32_e32 v21, 0x3ee1c552, v22
	v_add_f32_e32 v23, v25, v30
	v_fmac_f32_e32 v16, 0x3ee1c552, v22
	v_sub_f32_e32 v22, v4, v27
	v_add_f32_e32 v26, v21, v9
	v_sub_f32_e32 v9, v9, v21
	v_add_u32_e32 v21, 0x400, v28
	v_sub_f32_e32 v25, v23, v16
	v_add_f32_e32 v16, v16, v23
	ds_write2_b32 v21, v24, v22 offset0:59 offset1:104
	ds_write2_b32 v21, v25, v26 offset0:149 offset1:194
	v_add_u32_e32 v21, 0x600, v28
	v_add_f32_e32 v4, v27, v4
	ds_write2_b32 v21, v9, v16 offset0:111 offset1:156
	ds_write_b32 v28, v4 offset:2340
.LBB0_35:
	s_or_b64 exec, exec, s[2:3]
	s_waitcnt lgkmcnt(0)
	; wave barrier
	s_waitcnt lgkmcnt(0)
	s_and_saveexec_b64 s[0:1], vcc
	s_cbranch_execz .LBB0_37
; %bb.36:
	v_mov_b32_e32 v4, 0
	v_lshlrev_b64 v[21:22], 3, v[3:4]
	v_mov_b32_e32 v16, s13
	v_add_co_u32_e32 v21, vcc, s12, v21
	v_mov_b32_e32 v9, v4
	v_addc_co_u32_e32 v22, vcc, v16, v22, vcc
	v_lshlrev_b64 v[25:26], 3, v[8:9]
	v_mov_b32_e32 v8, v4
	v_add_co_u32_e32 v23, vcc, 0x1000, v21
	v_lshlrev_b64 v[7:8], 3, v[7:8]
	v_addc_co_u32_e32 v24, vcc, 0, v22, vcc
	v_add_co_u32_e32 v7, vcc, s12, v7
	v_addc_co_u32_e32 v8, vcc, v16, v8, vcc
	global_load_dwordx2 v[7:8], v[7:8], off offset:2496
	v_add_co_u32_e32 v25, vcc, s12, v25
	v_addc_co_u32_e32 v26, vcc, v16, v26, vcc
	global_load_dwordx2 v[27:28], v[23:24], off offset:416
	global_load_dwordx2 v[29:30], v[25:26], off offset:2496
	;; [unrolled: 1-line block ×4, first 2 shown]
	v_mul_lo_u32 v9, s5, v5
	v_mad_u64_u32 v[4:5], s[0:1], s4, v5, 0
	s_mov_b32 s0, 0xa01a01a1
	v_mul_hi_u32 v23, v3, s0
	ds_read2_b32 v[21:22], v35 offset0:189 offset1:252
	v_add_u32_e32 v16, 0x400, v0
	ds_read_b32 v35, v34
	ds_read_b32 v38, v33
	ds_read_b32 v39, v0 offset:2268
	ds_read_b32 v40, v0
	v_sub_u32_e32 v0, v3, v23
	v_lshrrev_b32_e32 v0, 1, v0
	v_add_u32_e32 v0, v0, v23
	v_lshrrev_b32_e32 v0, 8, v0
	v_mul_u32_u24_e32 v0, 0x13b, v0
	v_mul_lo_u32 v6, s4, v6
	v_sub_u32_e32 v41, v3, v0
	ds_read2_b32 v[25:26], v16 offset0:59 offset1:122
	ds_read2_b32 v[33:34], v16 offset0:185 offset1:248
	v_mad_u64_u32 v[23:24], s[2:3], s20, v41, 0
	v_add3_u32 v5, v5, v6, v9
	v_lshlrev_b64 v[4:5], 3, v[4:5]
	v_mov_b32_e32 v0, v24
	v_add_co_u32_e32 v4, vcc, s10, v4
	s_movk_i32 s1, 0x276
	s_waitcnt vmcnt(4)
	v_mul_f32_e32 v6, v11, v8
	s_waitcnt lgkmcnt(1)
	v_mul_f32_e32 v8, v26, v8
	s_waitcnt vmcnt(3)
	v_mul_f32_e32 v9, v20, v28
	v_mul_f32_e32 v16, v39, v28
	s_waitcnt vmcnt(1)
	v_mul_f32_e32 v24, v15, v32
	s_waitcnt lgkmcnt(0)
	v_mul_f32_e32 v28, v34, v32
	v_mul_f32_e32 v32, v14, v30
	;; [unrolled: 1-line block ×3, first 2 shown]
	v_fma_f32 v8, v11, v7, -v8
	s_waitcnt vmcnt(0)
	v_mul_f32_e32 v11, v10, v37
	v_mul_f32_e32 v37, v25, v37
	v_fmac_f32_e32 v9, v39, v27
	v_fma_f32 v16, v20, v27, -v16
	v_fmac_f32_e32 v32, v33, v29
	v_fma_f32 v27, v14, v29, -v30
	v_mad_u64_u32 v[29:30], s[2:3], s21, v41, v[0:1]
	v_fma_f32 v0, v10, v36, -v37
	v_sub_f32_e32 v10, v17, v0
	v_mov_b32_e32 v0, s11
	v_addc_co_u32_e32 v5, vcc, v0, v5, vcc
	v_lshlrev_b64 v[0:1], 3, v[1:2]
	v_fmac_f32_e32 v6, v26, v7
	v_fmac_f32_e32 v24, v34, v31
	v_fma_f32 v20, v15, v31, -v28
	v_sub_f32_e32 v7, v38, v6
	v_sub_f32_e32 v6, v19, v8
	;; [unrolled: 1-line block ×3, first 2 shown]
	v_add_co_u32_e32 v31, vcc, v4, v0
	v_add_u32_e32 v16, 0x13b, v41
	v_sub_f32_e32 v15, v21, v24
	v_sub_f32_e32 v26, v35, v32
	v_mov_b32_e32 v24, v29
	v_addc_co_u32_e32 v32, vcc, v5, v1, vcc
	v_mad_u64_u32 v[4:5], s[2:3], s20, v16, 0
	v_add_u32_e32 v29, 63, v3
	v_mul_hi_u32 v30, v29, s0
	v_mov_b32_e32 v2, v5
	v_lshlrev_b64 v[0:1], 3, v[23:24]
	v_mad_u64_u32 v[23:24], s[2:3], s21, v16, v[2:3]
	v_sub_u32_e32 v2, v29, v30
	v_lshrrev_b32_e32 v2, 1, v2
	v_add_u32_e32 v2, v2, v30
	v_lshrrev_b32_e32 v2, 8, v2
	v_mul_u32_u24_e32 v5, 0x13b, v2
	v_sub_u32_e32 v5, v29, v5
	v_mad_u32_u24 v16, v2, s1, v5
	v_mad_u64_u32 v[29:30], s[2:3], s20, v16, 0
	v_fmac_f32_e32 v11, v25, v36
	v_sub_f32_e32 v25, v18, v27
	v_sub_f32_e32 v11, v40, v11
	v_add_co_u32_e32 v0, vcc, v31, v0
	v_fma_f32 v27, v13, 2.0, -v8
	v_fma_f32 v13, v21, 2.0, -v15
	;; [unrolled: 1-line block ×5, first 2 shown]
	v_addc_co_u32_e32 v1, vcc, v32, v1, vcc
	v_mov_b32_e32 v5, v23
	global_store_dwordx2 v[0:1], v[17:18], off
	v_lshlrev_b64 v[0:1], 3, v[4:5]
	v_mov_b32_e32 v2, v30
	v_mad_u64_u32 v[4:5], s[2:3], s21, v16, v[2:3]
	v_add_co_u32_e32 v0, vcc, v31, v0
	v_addc_co_u32_e32 v1, vcc, v32, v1, vcc
	global_store_dwordx2 v[0:1], v[10:11], off
	v_add_u32_e32 v10, 0x13b, v16
	v_mov_b32_e32 v30, v4
	v_mad_u64_u32 v[4:5], s[2:3], s20, v10, 0
	v_add_u32_e32 v16, 0x7e, v3
	v_mul_hi_u32 v17, v16, s0
	v_mov_b32_e32 v2, v5
	v_mad_u64_u32 v[10:11], s[2:3], s21, v10, v[2:3]
	v_sub_u32_e32 v2, v16, v17
	v_lshrrev_b32_e32 v2, 1, v2
	v_add_u32_e32 v2, v2, v17
	v_lshrrev_b32_e32 v2, 8, v2
	v_mul_u32_u24_e32 v5, 0x13b, v2
	v_sub_u32_e32 v5, v16, v5
	v_mad_u32_u24 v11, v2, s1, v5
	v_lshlrev_b64 v[0:1], 3, v[29:30]
	v_mad_u64_u32 v[16:17], s[2:3], s20, v11, 0
	v_add_co_u32_e32 v0, vcc, v31, v0
	v_sub_f32_e32 v14, v12, v20
	v_fma_f32 v20, v38, 2.0, -v7
	v_fma_f32 v19, v19, 2.0, -v6
	v_addc_co_u32_e32 v1, vcc, v32, v1, vcc
	v_mov_b32_e32 v5, v10
	global_store_dwordx2 v[0:1], v[19:20], off
	v_lshlrev_b64 v[0:1], 3, v[4:5]
	v_mov_b32_e32 v2, v17
	v_mad_u64_u32 v[4:5], s[2:3], s21, v11, v[2:3]
	v_add_co_u32_e32 v0, vcc, v31, v0
	v_addc_co_u32_e32 v1, vcc, v32, v1, vcc
	global_store_dwordx2 v[0:1], v[6:7], off
	v_add_u32_e32 v6, 0x13b, v11
	v_mov_b32_e32 v17, v4
	v_mad_u64_u32 v[4:5], s[2:3], s20, v6, 0
	v_add_u32_e32 v7, 0xbd, v3
	v_mul_hi_u32 v10, v7, s0
	v_mov_b32_e32 v2, v5
	v_mad_u64_u32 v[5:6], s[2:3], s21, v6, v[2:3]
	v_sub_u32_e32 v2, v7, v10
	v_lshrrev_b32_e32 v2, 1, v2
	v_add_u32_e32 v2, v2, v10
	v_lshrrev_b32_e32 v2, 8, v2
	v_mul_u32_u24_e32 v6, 0x13b, v2
	v_sub_u32_e32 v6, v7, v6
	v_mad_u32_u24 v10, v2, s1, v6
	v_mad_u64_u32 v[6:7], s[2:3], s20, v10, 0
	v_lshlrev_b64 v[0:1], 3, v[16:17]
	v_sub_f32_e32 v9, v22, v9
	v_add_co_u32_e32 v0, vcc, v31, v0
	v_fma_f32 v28, v22, 2.0, -v9
	v_fma_f32 v22, v35, 2.0, -v26
	v_addc_co_u32_e32 v1, vcc, v32, v1, vcc
	v_mov_b32_e32 v2, v7
	global_store_dwordx2 v[0:1], v[21:22], off
	v_lshlrev_b64 v[0:1], 3, v[4:5]
	v_mad_u64_u32 v[4:5], s[2:3], s21, v10, v[2:3]
	v_add_co_u32_e32 v0, vcc, v31, v0
	v_addc_co_u32_e32 v1, vcc, v32, v1, vcc
	v_mov_b32_e32 v7, v4
	global_store_dwordx2 v[0:1], v[25:26], off
	v_lshlrev_b64 v[0:1], 3, v[6:7]
	v_add_u32_e32 v6, 0x13b, v10
	v_mad_u64_u32 v[4:5], s[2:3], s20, v6, 0
	v_add_co_u32_e32 v0, vcc, v31, v0
	v_mov_b32_e32 v2, v5
	v_mad_u64_u32 v[5:6], s[2:3], s21, v6, v[2:3]
	v_add_u32_e32 v2, 0xfc, v3
	v_mul_hi_u32 v3, v2, s0
	v_fma_f32 v12, v12, 2.0, -v14
	v_addc_co_u32_e32 v1, vcc, v32, v1, vcc
	global_store_dwordx2 v[0:1], v[12:13], off
	v_lshlrev_b64 v[0:1], 3, v[4:5]
	v_sub_u32_e32 v4, v2, v3
	v_lshrrev_b32_e32 v4, 1, v4
	v_add_u32_e32 v3, v4, v3
	v_lshrrev_b32_e32 v3, 8, v3
	v_mul_u32_u24_e32 v4, 0x13b, v3
	v_sub_u32_e32 v2, v2, v4
	v_mad_u32_u24 v5, v3, s1, v2
	v_mad_u64_u32 v[2:3], s[0:1], s20, v5, 0
	v_add_u32_e32 v6, 0x13b, v5
	v_add_co_u32_e32 v0, vcc, v31, v0
	v_mad_u64_u32 v[3:4], s[0:1], s21, v5, v[3:4]
	v_mad_u64_u32 v[4:5], s[0:1], s20, v6, 0
	v_addc_co_u32_e32 v1, vcc, v32, v1, vcc
	global_store_dwordx2 v[0:1], v[14:15], off
	v_lshlrev_b64 v[0:1], 3, v[2:3]
	v_mov_b32_e32 v2, v5
	v_mad_u64_u32 v[2:3], s[0:1], s21, v6, v[2:3]
	v_add_co_u32_e32 v0, vcc, v31, v0
	v_addc_co_u32_e32 v1, vcc, v32, v1, vcc
	v_mov_b32_e32 v5, v2
	global_store_dwordx2 v[0:1], v[27:28], off
	v_lshlrev_b64 v[0:1], 3, v[4:5]
	v_add_co_u32_e32 v0, vcc, v31, v0
	v_addc_co_u32_e32 v1, vcc, v32, v1, vcc
	global_store_dwordx2 v[0:1], v[8:9], off
.LBB0_37:
	s_endpgm
	.section	.rodata,"a",@progbits
	.p2align	6, 0x0
	.amdhsa_kernel fft_rtc_fwd_len630_factors_3_3_5_7_2_wgs_63_tpt_63_halfLds_sp_op_CI_CI_sbrr_dirReg
		.amdhsa_group_segment_fixed_size 0
		.amdhsa_private_segment_fixed_size 0
		.amdhsa_kernarg_size 104
		.amdhsa_user_sgpr_count 6
		.amdhsa_user_sgpr_private_segment_buffer 1
		.amdhsa_user_sgpr_dispatch_ptr 0
		.amdhsa_user_sgpr_queue_ptr 0
		.amdhsa_user_sgpr_kernarg_segment_ptr 1
		.amdhsa_user_sgpr_dispatch_id 0
		.amdhsa_user_sgpr_flat_scratch_init 0
		.amdhsa_user_sgpr_private_segment_size 0
		.amdhsa_uses_dynamic_stack 0
		.amdhsa_system_sgpr_private_segment_wavefront_offset 0
		.amdhsa_system_sgpr_workgroup_id_x 1
		.amdhsa_system_sgpr_workgroup_id_y 0
		.amdhsa_system_sgpr_workgroup_id_z 0
		.amdhsa_system_sgpr_workgroup_info 0
		.amdhsa_system_vgpr_workitem_id 0
		.amdhsa_next_free_vgpr 66
		.amdhsa_next_free_sgpr 32
		.amdhsa_reserve_vcc 1
		.amdhsa_reserve_flat_scratch 0
		.amdhsa_float_round_mode_32 0
		.amdhsa_float_round_mode_16_64 0
		.amdhsa_float_denorm_mode_32 3
		.amdhsa_float_denorm_mode_16_64 3
		.amdhsa_dx10_clamp 1
		.amdhsa_ieee_mode 1
		.amdhsa_fp16_overflow 0
		.amdhsa_exception_fp_ieee_invalid_op 0
		.amdhsa_exception_fp_denorm_src 0
		.amdhsa_exception_fp_ieee_div_zero 0
		.amdhsa_exception_fp_ieee_overflow 0
		.amdhsa_exception_fp_ieee_underflow 0
		.amdhsa_exception_fp_ieee_inexact 0
		.amdhsa_exception_int_div_zero 0
	.end_amdhsa_kernel
	.text
.Lfunc_end0:
	.size	fft_rtc_fwd_len630_factors_3_3_5_7_2_wgs_63_tpt_63_halfLds_sp_op_CI_CI_sbrr_dirReg, .Lfunc_end0-fft_rtc_fwd_len630_factors_3_3_5_7_2_wgs_63_tpt_63_halfLds_sp_op_CI_CI_sbrr_dirReg
                                        ; -- End function
	.section	.AMDGPU.csdata,"",@progbits
; Kernel info:
; codeLenInByte = 8240
; NumSgprs: 36
; NumVgprs: 66
; ScratchSize: 0
; MemoryBound: 0
; FloatMode: 240
; IeeeMode: 1
; LDSByteSize: 0 bytes/workgroup (compile time only)
; SGPRBlocks: 4
; VGPRBlocks: 16
; NumSGPRsForWavesPerEU: 36
; NumVGPRsForWavesPerEU: 66
; Occupancy: 3
; WaveLimiterHint : 1
; COMPUTE_PGM_RSRC2:SCRATCH_EN: 0
; COMPUTE_PGM_RSRC2:USER_SGPR: 6
; COMPUTE_PGM_RSRC2:TRAP_HANDLER: 0
; COMPUTE_PGM_RSRC2:TGID_X_EN: 1
; COMPUTE_PGM_RSRC2:TGID_Y_EN: 0
; COMPUTE_PGM_RSRC2:TGID_Z_EN: 0
; COMPUTE_PGM_RSRC2:TIDIG_COMP_CNT: 0
	.type	__hip_cuid_fe86c75efe85c0d4,@object ; @__hip_cuid_fe86c75efe85c0d4
	.section	.bss,"aw",@nobits
	.globl	__hip_cuid_fe86c75efe85c0d4
__hip_cuid_fe86c75efe85c0d4:
	.byte	0                               ; 0x0
	.size	__hip_cuid_fe86c75efe85c0d4, 1

	.ident	"AMD clang version 19.0.0git (https://github.com/RadeonOpenCompute/llvm-project roc-6.4.0 25133 c7fe45cf4b819c5991fe208aaa96edf142730f1d)"
	.section	".note.GNU-stack","",@progbits
	.addrsig
	.addrsig_sym __hip_cuid_fe86c75efe85c0d4
	.amdgpu_metadata
---
amdhsa.kernels:
  - .args:
      - .actual_access:  read_only
        .address_space:  global
        .offset:         0
        .size:           8
        .value_kind:     global_buffer
      - .offset:         8
        .size:           8
        .value_kind:     by_value
      - .actual_access:  read_only
        .address_space:  global
        .offset:         16
        .size:           8
        .value_kind:     global_buffer
      - .actual_access:  read_only
        .address_space:  global
        .offset:         24
        .size:           8
        .value_kind:     global_buffer
      - .actual_access:  read_only
        .address_space:  global
        .offset:         32
        .size:           8
        .value_kind:     global_buffer
      - .offset:         40
        .size:           8
        .value_kind:     by_value
      - .actual_access:  read_only
        .address_space:  global
        .offset:         48
        .size:           8
        .value_kind:     global_buffer
      - .actual_access:  read_only
        .address_space:  global
        .offset:         56
        .size:           8
        .value_kind:     global_buffer
      - .offset:         64
        .size:           4
        .value_kind:     by_value
      - .actual_access:  read_only
        .address_space:  global
        .offset:         72
        .size:           8
        .value_kind:     global_buffer
      - .actual_access:  read_only
        .address_space:  global
        .offset:         80
        .size:           8
        .value_kind:     global_buffer
      - .actual_access:  read_only
        .address_space:  global
        .offset:         88
        .size:           8
        .value_kind:     global_buffer
      - .actual_access:  write_only
        .address_space:  global
        .offset:         96
        .size:           8
        .value_kind:     global_buffer
    .group_segment_fixed_size: 0
    .kernarg_segment_align: 8
    .kernarg_segment_size: 104
    .language:       OpenCL C
    .language_version:
      - 2
      - 0
    .max_flat_workgroup_size: 63
    .name:           fft_rtc_fwd_len630_factors_3_3_5_7_2_wgs_63_tpt_63_halfLds_sp_op_CI_CI_sbrr_dirReg
    .private_segment_fixed_size: 0
    .sgpr_count:     36
    .sgpr_spill_count: 0
    .symbol:         fft_rtc_fwd_len630_factors_3_3_5_7_2_wgs_63_tpt_63_halfLds_sp_op_CI_CI_sbrr_dirReg.kd
    .uniform_work_group_size: 1
    .uses_dynamic_stack: false
    .vgpr_count:     66
    .vgpr_spill_count: 0
    .wavefront_size: 64
amdhsa.target:   amdgcn-amd-amdhsa--gfx906
amdhsa.version:
  - 1
  - 2
...

	.end_amdgpu_metadata
